;; amdgpu-corpus repo=ROCm/rocFFT kind=compiled arch=gfx906 opt=O3
	.text
	.amdgcn_target "amdgcn-amd-amdhsa--gfx906"
	.amdhsa_code_object_version 6
	.protected	fft_rtc_back_len1815_factors_11_3_5_11_wgs_165_tpt_165_sp_ip_CI_sbrr_dirReg ; -- Begin function fft_rtc_back_len1815_factors_11_3_5_11_wgs_165_tpt_165_sp_ip_CI_sbrr_dirReg
	.globl	fft_rtc_back_len1815_factors_11_3_5_11_wgs_165_tpt_165_sp_ip_CI_sbrr_dirReg
	.p2align	8
	.type	fft_rtc_back_len1815_factors_11_3_5_11_wgs_165_tpt_165_sp_ip_CI_sbrr_dirReg,@function
fft_rtc_back_len1815_factors_11_3_5_11_wgs_165_tpt_165_sp_ip_CI_sbrr_dirReg: ; @fft_rtc_back_len1815_factors_11_3_5_11_wgs_165_tpt_165_sp_ip_CI_sbrr_dirReg
; %bb.0:
	s_load_dwordx2 s[14:15], s[4:5], 0x18
	s_load_dwordx4 s[8:11], s[4:5], 0x0
	s_load_dwordx2 s[12:13], s[4:5], 0x50
	v_mul_u32_u24_e32 v1, 0x18e, v0
	v_add_u32_sdwa v5, s6, v1 dst_sel:DWORD dst_unused:UNUSED_PAD src0_sel:DWORD src1_sel:WORD_1
	s_waitcnt lgkmcnt(0)
	s_load_dwordx2 s[2:3], s[14:15], 0x0
	v_cmp_lt_u64_e64 s[0:1], s[10:11], 2
	v_mov_b32_e32 v3, 0
	v_mov_b32_e32 v1, 0
	;; [unrolled: 1-line block ×3, first 2 shown]
	s_and_b64 vcc, exec, s[0:1]
	v_mov_b32_e32 v2, 0
	s_cbranch_vccnz .LBB0_8
; %bb.1:
	s_load_dwordx2 s[0:1], s[4:5], 0x10
	s_add_u32 s6, s14, 8
	s_addc_u32 s7, s15, 0
	v_mov_b32_e32 v1, 0
	v_mov_b32_e32 v2, 0
	s_waitcnt lgkmcnt(0)
	s_add_u32 s16, s0, 8
	s_addc_u32 s17, s1, 0
	s_mov_b64 s[18:19], 1
.LBB0_2:                                ; =>This Inner Loop Header: Depth=1
	s_load_dwordx2 s[20:21], s[16:17], 0x0
                                        ; implicit-def: $vgpr7_vgpr8
	s_waitcnt lgkmcnt(0)
	v_or_b32_e32 v4, s21, v6
	v_cmp_ne_u64_e32 vcc, 0, v[3:4]
	s_and_saveexec_b64 s[0:1], vcc
	s_xor_b64 s[22:23], exec, s[0:1]
	s_cbranch_execz .LBB0_4
; %bb.3:                                ;   in Loop: Header=BB0_2 Depth=1
	v_cvt_f32_u32_e32 v4, s20
	v_cvt_f32_u32_e32 v7, s21
	s_sub_u32 s0, 0, s20
	s_subb_u32 s1, 0, s21
	v_mac_f32_e32 v4, 0x4f800000, v7
	v_rcp_f32_e32 v4, v4
	v_mul_f32_e32 v4, 0x5f7ffffc, v4
	v_mul_f32_e32 v7, 0x2f800000, v4
	v_trunc_f32_e32 v7, v7
	v_mac_f32_e32 v4, 0xcf800000, v7
	v_cvt_u32_f32_e32 v7, v7
	v_cvt_u32_f32_e32 v4, v4
	v_mul_lo_u32 v8, s0, v7
	v_mul_hi_u32 v9, s0, v4
	v_mul_lo_u32 v11, s1, v4
	v_mul_lo_u32 v10, s0, v4
	v_add_u32_e32 v8, v9, v8
	v_add_u32_e32 v8, v8, v11
	v_mul_hi_u32 v9, v4, v10
	v_mul_lo_u32 v11, v4, v8
	v_mul_hi_u32 v13, v4, v8
	v_mul_hi_u32 v12, v7, v10
	v_mul_lo_u32 v10, v7, v10
	v_mul_hi_u32 v14, v7, v8
	v_add_co_u32_e32 v9, vcc, v9, v11
	v_addc_co_u32_e32 v11, vcc, 0, v13, vcc
	v_mul_lo_u32 v8, v7, v8
	v_add_co_u32_e32 v9, vcc, v9, v10
	v_addc_co_u32_e32 v9, vcc, v11, v12, vcc
	v_addc_co_u32_e32 v10, vcc, 0, v14, vcc
	v_add_co_u32_e32 v8, vcc, v9, v8
	v_addc_co_u32_e32 v9, vcc, 0, v10, vcc
	v_add_co_u32_e32 v4, vcc, v4, v8
	v_addc_co_u32_e32 v7, vcc, v7, v9, vcc
	v_mul_lo_u32 v8, s0, v7
	v_mul_hi_u32 v9, s0, v4
	v_mul_lo_u32 v10, s1, v4
	v_mul_lo_u32 v11, s0, v4
	v_add_u32_e32 v8, v9, v8
	v_add_u32_e32 v8, v8, v10
	v_mul_lo_u32 v12, v4, v8
	v_mul_hi_u32 v13, v4, v11
	v_mul_hi_u32 v14, v4, v8
	;; [unrolled: 1-line block ×3, first 2 shown]
	v_mul_lo_u32 v11, v7, v11
	v_mul_hi_u32 v9, v7, v8
	v_add_co_u32_e32 v12, vcc, v13, v12
	v_addc_co_u32_e32 v13, vcc, 0, v14, vcc
	v_mul_lo_u32 v8, v7, v8
	v_add_co_u32_e32 v11, vcc, v12, v11
	v_addc_co_u32_e32 v10, vcc, v13, v10, vcc
	v_addc_co_u32_e32 v9, vcc, 0, v9, vcc
	v_add_co_u32_e32 v8, vcc, v10, v8
	v_addc_co_u32_e32 v9, vcc, 0, v9, vcc
	v_add_co_u32_e32 v4, vcc, v4, v8
	v_addc_co_u32_e32 v9, vcc, v7, v9, vcc
	v_mad_u64_u32 v[7:8], s[0:1], v5, v9, 0
	v_mul_hi_u32 v10, v5, v4
	v_add_co_u32_e32 v11, vcc, v10, v7
	v_addc_co_u32_e32 v12, vcc, 0, v8, vcc
	v_mad_u64_u32 v[7:8], s[0:1], v6, v4, 0
	v_mad_u64_u32 v[9:10], s[0:1], v6, v9, 0
	v_add_co_u32_e32 v4, vcc, v11, v7
	v_addc_co_u32_e32 v4, vcc, v12, v8, vcc
	v_addc_co_u32_e32 v7, vcc, 0, v10, vcc
	v_add_co_u32_e32 v4, vcc, v4, v9
	v_addc_co_u32_e32 v9, vcc, 0, v7, vcc
	v_mul_lo_u32 v10, s21, v4
	v_mul_lo_u32 v11, s20, v9
	v_mad_u64_u32 v[7:8], s[0:1], s20, v4, 0
	v_add3_u32 v8, v8, v11, v10
	v_sub_u32_e32 v10, v6, v8
	v_mov_b32_e32 v11, s21
	v_sub_co_u32_e32 v7, vcc, v5, v7
	v_subb_co_u32_e64 v10, s[0:1], v10, v11, vcc
	v_subrev_co_u32_e64 v11, s[0:1], s20, v7
	v_subbrev_co_u32_e64 v10, s[0:1], 0, v10, s[0:1]
	v_cmp_le_u32_e64 s[0:1], s21, v10
	v_cndmask_b32_e64 v12, 0, -1, s[0:1]
	v_cmp_le_u32_e64 s[0:1], s20, v11
	v_cndmask_b32_e64 v11, 0, -1, s[0:1]
	v_cmp_eq_u32_e64 s[0:1], s21, v10
	v_cndmask_b32_e64 v10, v12, v11, s[0:1]
	v_add_co_u32_e64 v11, s[0:1], 2, v4
	v_addc_co_u32_e64 v12, s[0:1], 0, v9, s[0:1]
	v_add_co_u32_e64 v13, s[0:1], 1, v4
	v_addc_co_u32_e64 v14, s[0:1], 0, v9, s[0:1]
	v_subb_co_u32_e32 v8, vcc, v6, v8, vcc
	v_cmp_ne_u32_e64 s[0:1], 0, v10
	v_cmp_le_u32_e32 vcc, s21, v8
	v_cndmask_b32_e64 v10, v14, v12, s[0:1]
	v_cndmask_b32_e64 v12, 0, -1, vcc
	v_cmp_le_u32_e32 vcc, s20, v7
	v_cndmask_b32_e64 v7, 0, -1, vcc
	v_cmp_eq_u32_e32 vcc, s21, v8
	v_cndmask_b32_e32 v7, v12, v7, vcc
	v_cmp_ne_u32_e32 vcc, 0, v7
	v_cndmask_b32_e64 v7, v13, v11, s[0:1]
	v_cndmask_b32_e32 v8, v9, v10, vcc
	v_cndmask_b32_e32 v7, v4, v7, vcc
.LBB0_4:                                ;   in Loop: Header=BB0_2 Depth=1
	s_andn2_saveexec_b64 s[0:1], s[22:23]
	s_cbranch_execz .LBB0_6
; %bb.5:                                ;   in Loop: Header=BB0_2 Depth=1
	v_cvt_f32_u32_e32 v4, s20
	s_sub_i32 s22, 0, s20
	v_rcp_iflag_f32_e32 v4, v4
	v_mul_f32_e32 v4, 0x4f7ffffe, v4
	v_cvt_u32_f32_e32 v4, v4
	v_mul_lo_u32 v7, s22, v4
	v_mul_hi_u32 v7, v4, v7
	v_add_u32_e32 v4, v4, v7
	v_mul_hi_u32 v4, v5, v4
	v_mul_lo_u32 v7, v4, s20
	v_add_u32_e32 v8, 1, v4
	v_sub_u32_e32 v7, v5, v7
	v_subrev_u32_e32 v9, s20, v7
	v_cmp_le_u32_e32 vcc, s20, v7
	v_cndmask_b32_e32 v7, v7, v9, vcc
	v_cndmask_b32_e32 v4, v4, v8, vcc
	v_add_u32_e32 v8, 1, v4
	v_cmp_le_u32_e32 vcc, s20, v7
	v_cndmask_b32_e32 v7, v4, v8, vcc
	v_mov_b32_e32 v8, v3
.LBB0_6:                                ;   in Loop: Header=BB0_2 Depth=1
	s_or_b64 exec, exec, s[0:1]
	v_mul_lo_u32 v4, v8, s20
	v_mul_lo_u32 v11, v7, s21
	v_mad_u64_u32 v[9:10], s[0:1], v7, s20, 0
	s_load_dwordx2 s[0:1], s[6:7], 0x0
	s_add_u32 s18, s18, 1
	v_add3_u32 v4, v10, v11, v4
	v_sub_co_u32_e32 v5, vcc, v5, v9
	v_subb_co_u32_e32 v4, vcc, v6, v4, vcc
	s_waitcnt lgkmcnt(0)
	v_mul_lo_u32 v4, s0, v4
	v_mul_lo_u32 v6, s1, v5
	v_mad_u64_u32 v[1:2], s[0:1], s0, v5, v[1:2]
	s_addc_u32 s19, s19, 0
	s_add_u32 s6, s6, 8
	v_add3_u32 v2, v6, v2, v4
	v_mov_b32_e32 v4, s10
	v_mov_b32_e32 v5, s11
	s_addc_u32 s7, s7, 0
	v_cmp_ge_u64_e32 vcc, s[18:19], v[4:5]
	s_add_u32 s16, s16, 8
	s_addc_u32 s17, s17, 0
	s_cbranch_vccnz .LBB0_9
; %bb.7:                                ;   in Loop: Header=BB0_2 Depth=1
	v_mov_b32_e32 v5, v7
	v_mov_b32_e32 v6, v8
	s_branch .LBB0_2
.LBB0_8:
	v_mov_b32_e32 v8, v6
	v_mov_b32_e32 v7, v5
.LBB0_9:
	s_lshl_b64 s[0:1], s[10:11], 3
	s_add_u32 s0, s14, s0
	s_addc_u32 s1, s15, s1
	s_load_dwordx2 s[6:7], s[0:1], 0x0
	s_load_dwordx2 s[10:11], s[4:5], 0x20
                                        ; implicit-def: $vgpr35
                                        ; implicit-def: $vgpr34
                                        ; implicit-def: $vgpr26
	s_waitcnt lgkmcnt(0)
	v_mad_u64_u32 v[1:2], s[0:1], s6, v7, v[1:2]
	s_mov_b32 s0, 0x18d3019
	v_mul_lo_u32 v3, s6, v8
	v_mul_lo_u32 v4, s7, v7
	v_mul_hi_u32 v5, v0, s0
	v_cmp_gt_u64_e32 vcc, s[10:11], v[7:8]
	v_cmp_le_u64_e64 s[0:1], s[10:11], v[7:8]
	v_add3_u32 v2, v4, v2, v3
	v_mul_u32_u24_e32 v3, 0xa5, v5
	v_sub_u32_e32 v33, v0, v3
                                        ; implicit-def: $sgpr6_sgpr7
                                        ; implicit-def: $sgpr10
	s_and_saveexec_b64 s[4:5], s[0:1]
	s_xor_b64 s[0:1], exec, s[4:5]
; %bb.10:
	v_add_u32_e32 v35, 0xa5, v33
	v_add_u32_e32 v34, 0x14a, v33
	;; [unrolled: 1-line block ×3, first 2 shown]
	s_mov_b32 s10, 0
	s_mov_b64 s[6:7], 0
; %bb.11:
	s_or_saveexec_b64 s[4:5], s[0:1]
	v_lshlrev_b64 v[16:17], 3, v[1:2]
	v_mov_b32_e32 v2, s6
	v_mov_b32_e32 v32, s10
	;; [unrolled: 1-line block ×3, first 2 shown]
                                        ; implicit-def: $vgpr23
                                        ; implicit-def: $vgpr19
                                        ; implicit-def: $vgpr13
                                        ; implicit-def: $vgpr9
                                        ; implicit-def: $vgpr5
                                        ; implicit-def: $vgpr25
                                        ; implicit-def: $vgpr21
                                        ; implicit-def: $vgpr15
                                        ; implicit-def: $vgpr11
                                        ; implicit-def: $vgpr7
	s_xor_b64 exec, exec, s[4:5]
	s_cbranch_execz .LBB0_13
; %bb.12:
	v_mad_u64_u32 v[0:1], s[0:1], s2, v33, 0
	v_add_u32_e32 v35, 0xa5, v33
	v_mov_b32_e32 v4, s13
	v_mad_u64_u32 v[1:2], s[0:1], s3, v33, v[1:2]
	v_mad_u64_u32 v[2:3], s[0:1], s2, v35, 0
	v_add_co_u32_e64 v10, s[0:1], s12, v16
	v_addc_co_u32_e64 v11, s[0:1], v4, v17, s[0:1]
	v_mad_u64_u32 v[3:4], s[0:1], s3, v35, v[3:4]
	v_add_u32_e32 v34, 0x14a, v33
	v_mad_u64_u32 v[4:5], s[0:1], s2, v34, 0
	v_lshlrev_b64 v[0:1], 3, v[0:1]
	v_add_u32_e32 v26, 0x1ef, v33
	v_add_co_u32_e64 v0, s[0:1], v10, v0
	v_addc_co_u32_e64 v1, s[0:1], v11, v1, s[0:1]
	v_mad_u64_u32 v[5:6], s[0:1], s3, v34, v[5:6]
	v_mad_u64_u32 v[6:7], s[0:1], s2, v26, 0
	v_lshlrev_b64 v[2:3], 3, v[2:3]
	v_add_co_u32_e64 v27, s[0:1], v10, v2
	v_addc_co_u32_e64 v28, s[0:1], v11, v3, s[0:1]
	v_lshlrev_b64 v[2:3], 3, v[4:5]
	v_mov_b32_e32 v4, v7
	v_mad_u64_u32 v[4:5], s[0:1], s3, v26, v[4:5]
	v_add_u32_e32 v5, 0x294, v33
	v_mad_u64_u32 v[8:9], s[0:1], s2, v5, 0
	v_add_co_u32_e64 v29, s[0:1], v10, v2
	v_mov_b32_e32 v7, v4
	v_mov_b32_e32 v4, v9
	v_addc_co_u32_e64 v30, s[0:1], v11, v3, s[0:1]
	v_lshlrev_b64 v[2:3], 3, v[6:7]
	v_mad_u64_u32 v[4:5], s[0:1], s3, v5, v[4:5]
	v_add_u32_e32 v7, 0x339, v33
	v_mad_u64_u32 v[5:6], s[0:1], s2, v7, 0
	v_add_co_u32_e64 v31, s[0:1], v10, v2
	v_mov_b32_e32 v9, v4
	v_mov_b32_e32 v4, v6
	v_addc_co_u32_e64 v32, s[0:1], v11, v3, s[0:1]
	v_lshlrev_b64 v[2:3], 3, v[8:9]
	v_mad_u64_u32 v[6:7], s[0:1], s3, v7, v[4:5]
	v_add_u32_e32 v9, 0x3de, v33
	v_mad_u64_u32 v[7:8], s[0:1], s2, v9, 0
	v_add_co_u32_e64 v36, s[0:1], v10, v2
	v_mov_b32_e32 v4, v8
	v_addc_co_u32_e64 v37, s[0:1], v11, v3, s[0:1]
	v_lshlrev_b64 v[2:3], 3, v[5:6]
	v_mad_u64_u32 v[4:5], s[0:1], s3, v9, v[4:5]
	v_add_u32_e32 v9, 0x483, v33
	v_mad_u64_u32 v[5:6], s[0:1], s2, v9, 0
	v_add_co_u32_e64 v38, s[0:1], v10, v2
	v_mov_b32_e32 v8, v4
	v_mov_b32_e32 v4, v6
	v_addc_co_u32_e64 v39, s[0:1], v11, v3, s[0:1]
	v_lshlrev_b64 v[2:3], 3, v[7:8]
	v_mad_u64_u32 v[6:7], s[0:1], s3, v9, v[4:5]
	v_add_u32_e32 v9, 0x528, v33
	v_mad_u64_u32 v[7:8], s[0:1], s2, v9, 0
	v_add_co_u32_e64 v40, s[0:1], v10, v2
	;; [unrolled: 15-line block ×3, first 2 shown]
	v_mov_b32_e32 v4, v8
	v_addc_co_u32_e64 v45, s[0:1], v11, v3, s[0:1]
	v_lshlrev_b64 v[2:3], 3, v[5:6]
	v_mad_u64_u32 v[4:5], s[0:1], s3, v9, v[4:5]
	v_add_co_u32_e64 v46, s[0:1], v10, v2
	v_mov_b32_e32 v8, v4
	v_addc_co_u32_e64 v47, s[0:1], v11, v3, s[0:1]
	v_lshlrev_b64 v[2:3], 3, v[7:8]
	v_add_co_u32_e64 v48, s[0:1], v10, v2
	v_addc_co_u32_e64 v49, s[0:1], v11, v3, s[0:1]
	global_load_dwordx2 v[2:3], v[0:1], off
	global_load_dwordx2 v[22:23], v[27:28], off
	;; [unrolled: 1-line block ×11, first 2 shown]
	v_mov_b32_e32 v32, v33
.LBB0_13:
	s_or_b64 exec, exec, s[4:5]
	s_waitcnt vmcnt(9)
	v_add_f32_e32 v0, v22, v2
	v_add_f32_e32 v1, v23, v3
	s_waitcnt vmcnt(8)
	v_add_f32_e32 v0, v18, v0
	v_add_f32_e32 v1, v19, v1
	;; [unrolled: 3-line block ×9, first 2 shown]
	s_waitcnt vmcnt(0)
	v_add_f32_e32 v28, v23, v25
	v_sub_f32_e32 v23, v23, v25
	v_add_f32_e32 v0, v24, v0
	v_add_f32_e32 v1, v25, v1
	;; [unrolled: 1-line block ×3, first 2 shown]
	v_sub_f32_e32 v22, v22, v24
	v_mul_f32_e32 v24, 0xbf0a6770, v23
	v_add_f32_e32 v25, v18, v20
	v_sub_f32_e32 v18, v18, v20
	v_add_f32_e32 v20, v12, v14
	v_sub_f32_e32 v30, v12, v14
	;; [unrolled: 2-line block ×4, first 2 shown]
	v_mul_f32_e32 v6, 0xbf68dda4, v23
	s_mov_b32 s1, 0xbe11bafb
	v_mul_f32_e32 v8, 0xbf7d64f0, v23
	v_mul_f32_e32 v10, 0xbf4178ce, v23
	v_mul_f32_e32 v12, 0xbe903f40, v23
	s_mov_b32 s0, 0x3f575c64
	v_add_f32_e32 v29, v19, v21
	v_sub_f32_e32 v19, v19, v21
	v_add_f32_e32 v21, v13, v15
	v_sub_f32_e32 v31, v13, v15
	;; [unrolled: 2-line block ×4, first 2 shown]
	v_mov_b32_e32 v4, v24
	s_mov_b32 s4, 0x3ed4b147
	v_mov_b32_e32 v7, v6
	v_mov_b32_e32 v9, v8
	v_fma_f32 v8, v27, s1, -v8
	s_mov_b32 s5, 0xbf27a4f4
	v_mov_b32_e32 v11, v10
	s_mov_b32 s6, 0xbf75a155
	v_mov_b32_e32 v13, v12
	v_fmac_f32_e32 v4, 0x3f575c64, v27
	v_fma_f32 v5, v27, s0, -v24
	v_fmac_f32_e32 v7, 0x3ed4b147, v27
	v_fma_f32 v6, v27, s4, -v6
	v_fmac_f32_e32 v9, 0xbe11bafb, v27
	v_fmac_f32_e32 v11, 0xbf27a4f4, v27
	v_fma_f32 v10, v27, s5, -v10
	v_fmac_f32_e32 v13, 0xbf75a155, v27
	v_fma_f32 v12, v27, s6, -v12
	v_mul_f32_e32 v14, 0xbf0a6770, v22
	v_mul_f32_e32 v23, 0xbf68dda4, v22
	v_mul_f32_e32 v27, 0xbf7d64f0, v22
	v_mul_f32_e32 v45, 0xbf4178ce, v22
	v_mul_f32_e32 v22, 0xbe903f40, v22
	v_add_f32_e32 v48, v8, v2
	v_mul_f32_e32 v8, 0xbf68dda4, v19
	v_fma_f32 v15, v28, s0, -v14
	v_fmac_f32_e32 v14, 0x3f575c64, v28
	v_fma_f32 v24, v28, s4, -v23
	v_fmac_f32_e32 v23, 0x3ed4b147, v28
	;; [unrolled: 2-line block ×5, first 2 shown]
	v_add_f32_e32 v4, v4, v2
	v_add_f32_e32 v5, v5, v2
	;; [unrolled: 1-line block ×9, first 2 shown]
	v_mov_b32_e32 v2, v8
	v_mul_f32_e32 v9, 0xbf7d64f0, v31
	v_fmac_f32_e32 v2, 0x3ed4b147, v25
	v_mov_b32_e32 v10, v9
	v_add_f32_e32 v2, v2, v4
	v_mul_f32_e32 v4, 0xbf68dda4, v18
	v_fmac_f32_e32 v10, 0xbe11bafb, v20
	v_add_f32_e32 v15, v15, v3
	v_add_f32_e32 v14, v14, v3
	;; [unrolled: 1-line block ×10, first 2 shown]
	v_fma_f32 v3, v29, s4, -v4
	v_add_f32_e32 v2, v10, v2
	v_mul_f32_e32 v10, 0xbf7d64f0, v30
	v_add_f32_e32 v3, v3, v15
	v_fma_f32 v11, v21, s1, -v10
	v_add_f32_e32 v3, v11, v3
	v_mul_f32_e32 v11, 0xbf4178ce, v39
	v_mov_b32_e32 v12, v11
	v_fmac_f32_e32 v12, 0xbf27a4f4, v36
	v_add_f32_e32 v2, v12, v2
	v_mul_f32_e32 v12, 0xbf4178ce, v38
	v_fma_f32 v13, v37, s5, -v12
	v_add_f32_e32 v3, v13, v3
	v_mul_f32_e32 v13, 0xbe903f40, v43
	v_fma_f32 v8, v25, s4, -v8
	v_mov_b32_e32 v15, v13
	v_add_f32_e32 v5, v8, v5
	v_fmac_f32_e32 v4, 0x3ed4b147, v29
	v_fma_f32 v8, v20, s1, -v9
	v_fmac_f32_e32 v15, 0xbf75a155, v40
	v_add_f32_e32 v4, v4, v14
	v_add_f32_e32 v5, v8, v5
	v_fmac_f32_e32 v10, 0xbe11bafb, v21
	v_fma_f32 v8, v36, s5, -v11
	v_add_f32_e32 v2, v15, v2
	v_mul_f32_e32 v15, 0xbe903f40, v42
	v_add_f32_e32 v4, v10, v4
	v_add_f32_e32 v5, v8, v5
	v_fmac_f32_e32 v12, 0xbf27a4f4, v37
	v_fma_f32 v8, v40, s6, -v13
	v_fma_f32 v53, v41, s6, -v15
	v_add_f32_e32 v4, v12, v4
	v_add_f32_e32 v10, v8, v5
	v_fmac_f32_e32 v15, 0xbf75a155, v41
	v_mul_f32_e32 v8, 0xbf4178ce, v19
	v_add_f32_e32 v11, v15, v4
	v_mov_b32_e32 v4, v8
	v_mul_f32_e32 v9, 0x3e903f40, v31
	v_fmac_f32_e32 v4, 0xbf27a4f4, v25
	v_mov_b32_e32 v12, v9
	v_add_f32_e32 v4, v4, v7
	v_mul_f32_e32 v7, 0xbf4178ce, v18
	v_fmac_f32_e32 v12, 0xbf75a155, v20
	v_fma_f32 v5, v29, s5, -v7
	v_add_f32_e32 v4, v12, v4
	v_mul_f32_e32 v12, 0x3e903f40, v30
	v_add_f32_e32 v5, v5, v24
	v_fma_f32 v13, v21, s6, -v12
	v_add_f32_e32 v5, v13, v5
	v_mul_f32_e32 v13, 0x3f7d64f0, v39
	v_mov_b32_e32 v14, v13
	v_fmac_f32_e32 v14, 0xbe11bafb, v36
	v_add_f32_e32 v4, v14, v4
	v_mul_f32_e32 v14, 0x3f7d64f0, v38
	v_fma_f32 v8, v25, s5, -v8
	v_fma_f32 v15, v37, s1, -v14
	v_add_f32_e32 v6, v8, v6
	v_fmac_f32_e32 v7, 0xbf27a4f4, v29
	v_fma_f32 v8, v20, s6, -v9
	v_add_f32_e32 v5, v15, v5
	v_mul_f32_e32 v15, 0x3f0a6770, v43
	v_add_f32_e32 v7, v7, v23
	v_add_f32_e32 v6, v8, v6
	v_fmac_f32_e32 v12, 0xbf75a155, v21
	v_fma_f32 v8, v36, s1, -v13
	v_mov_b32_e32 v24, v15
	v_add_f32_e32 v7, v12, v7
	v_add_f32_e32 v6, v8, v6
	v_fmac_f32_e32 v14, 0xbe11bafb, v37
	v_fma_f32 v8, v40, s0, -v15
	v_mul_f32_e32 v12, 0x3e903f40, v19
	v_fmac_f32_e32 v24, 0x3f575c64, v40
	v_add_f32_e32 v7, v14, v7
	v_add_f32_e32 v8, v8, v6
	v_mov_b32_e32 v6, v12
	v_mul_f32_e32 v14, 0x3f68dda4, v31
	v_add_f32_e32 v4, v24, v4
	v_mul_f32_e32 v24, 0x3f0a6770, v42
	v_fmac_f32_e32 v6, 0xbf75a155, v25
	v_mov_b32_e32 v15, v14
	v_add_f32_e32 v3, v53, v3
	v_fma_f32 v53, v41, s0, -v24
	v_fmac_f32_e32 v24, 0x3f575c64, v41
	v_add_f32_e32 v6, v6, v28
	v_mul_f32_e32 v13, 0x3e903f40, v18
	v_fmac_f32_e32 v15, 0x3ed4b147, v20
	v_add_f32_e32 v9, v24, v7
	v_fma_f32 v7, v29, s6, -v13
	v_add_f32_e32 v6, v15, v6
	v_mul_f32_e32 v15, 0x3f68dda4, v30
	v_add_f32_e32 v7, v7, v44
	v_fma_f32 v23, v21, s4, -v15
	v_add_f32_e32 v7, v23, v7
	v_mul_f32_e32 v23, 0xbf0a6770, v39
	v_mov_b32_e32 v24, v23
	v_fmac_f32_e32 v24, 0x3f575c64, v36
	v_add_f32_e32 v6, v24, v6
	v_mul_f32_e32 v24, 0xbf0a6770, v38
	v_fma_f32 v12, v25, s6, -v12
	v_fma_f32 v28, v37, s0, -v24
	v_add_f32_e32 v12, v12, v48
	v_fma_f32 v14, v20, s4, -v14
	v_add_f32_e32 v7, v28, v7
	v_mul_f32_e32 v28, 0xbf4178ce, v43
	v_add_f32_e32 v12, v14, v12
	v_fma_f32 v14, v36, s0, -v23
	v_fmac_f32_e32 v13, 0xbf75a155, v29
	v_add_f32_e32 v12, v14, v12
	v_fma_f32 v14, v40, s5, -v28
	v_mul_f32_e32 v23, 0x3f7d64f0, v19
	v_mov_b32_e32 v44, v28
	v_add_f32_e32 v13, v13, v27
	v_fmac_f32_e32 v15, 0x3ed4b147, v21
	v_add_f32_e32 v12, v14, v12
	v_mov_b32_e32 v14, v23
	v_mul_f32_e32 v27, 0xbf0a6770, v31
	v_fmac_f32_e32 v44, 0xbf27a4f4, v40
	v_add_f32_e32 v13, v15, v13
	v_fmac_f32_e32 v24, 0x3f575c64, v37
	v_fmac_f32_e32 v14, 0xbe11bafb, v25
	v_mov_b32_e32 v28, v27
	v_add_f32_e32 v6, v44, v6
	v_mul_f32_e32 v44, 0xbf4178ce, v42
	v_add_f32_e32 v13, v24, v13
	v_add_f32_e32 v14, v14, v49
	v_mul_f32_e32 v24, 0x3f7d64f0, v18
	v_fmac_f32_e32 v28, 0x3f575c64, v20
	v_fma_f32 v23, v25, s1, -v23
	v_mul_f32_e32 v18, 0x3f0a6770, v18
	v_add_f32_e32 v5, v53, v5
	v_fma_f32 v53, v41, s5, -v44
	v_fmac_f32_e32 v44, 0xbf27a4f4, v41
	v_fma_f32 v15, v29, s1, -v24
	v_add_f32_e32 v14, v28, v14
	v_mul_f32_e32 v28, 0xbf0a6770, v30
	v_add_f32_e32 v23, v23, v50
	v_fmac_f32_e32 v24, 0xbe11bafb, v29
	v_fma_f32 v50, v29, s0, -v18
	v_fmac_f32_e32 v18, 0x3f575c64, v29
	v_add_f32_e32 v13, v44, v13
	v_add_f32_e32 v15, v15, v46
	v_fma_f32 v44, v21, s0, -v28
	v_add_f32_e32 v24, v24, v45
	v_mul_f32_e32 v19, 0x3f0a6770, v19
	v_add_f32_e32 v18, v18, v22
	v_fma_f32 v22, v20, s0, -v27
	v_fmac_f32_e32 v28, 0x3f575c64, v21
	v_add_f32_e32 v15, v44, v15
	v_mul_f32_e32 v44, 0xbe903f40, v39
	v_mov_b32_e32 v45, v19
	v_add_f32_e32 v22, v22, v23
	v_add_f32_e32 v23, v28, v24
	v_mul_f32_e32 v24, 0xbf4178ce, v31
	v_mov_b32_e32 v46, v44
	v_fmac_f32_e32 v45, 0x3f575c64, v25
	v_fma_f32 v19, v25, s0, -v19
	v_mov_b32_e32 v25, v24
	v_fmac_f32_e32 v46, 0xbf75a155, v36
	v_add_f32_e32 v19, v19, v52
	v_fmac_f32_e32 v25, 0xbf27a4f4, v20
	v_fma_f32 v20, v20, s5, -v24
	v_add_f32_e32 v14, v46, v14
	v_mul_f32_e32 v46, 0xbe903f40, v38
	v_add_f32_e32 v19, v20, v19
	v_fma_f32 v20, v36, s6, -v44
	v_fma_f32 v48, v37, s6, -v46
	v_mul_f32_e32 v27, 0xbf4178ce, v30
	v_add_f32_e32 v20, v20, v22
	v_fmac_f32_e32 v46, 0xbf75a155, v37
	v_mul_f32_e32 v22, 0x3f68dda4, v39
	v_add_f32_e32 v45, v45, v51
	v_fma_f32 v28, v21, s5, -v27
	v_fmac_f32_e32 v27, 0xbf27a4f4, v21
	v_add_f32_e32 v21, v46, v23
	v_mov_b32_e32 v23, v22
	v_add_f32_e32 v25, v25, v45
	v_fmac_f32_e32 v23, 0x3ed4b147, v36
	v_mul_f32_e32 v24, 0x3f68dda4, v38
	v_add_f32_e32 v15, v48, v15
	v_mul_f32_e32 v48, 0x3f68dda4, v43
	v_add_f32_e32 v18, v27, v18
	v_add_f32_e32 v23, v23, v25
	v_fma_f32 v25, v37, s4, -v24
	v_fmac_f32_e32 v24, 0x3ed4b147, v37
	v_mov_b32_e32 v49, v48
	v_add_f32_e32 v24, v24, v18
	v_fma_f32 v18, v40, s4, -v48
	v_mul_f32_e32 v27, 0xbf7d64f0, v43
	v_fmac_f32_e32 v49, 0x3ed4b147, v40
	v_add_f32_e32 v18, v18, v20
	v_mov_b32_e32 v20, v27
	v_add_f32_e32 v14, v49, v14
	v_mul_f32_e32 v49, 0x3f68dda4, v42
	v_add_f32_e32 v47, v50, v47
	v_fmac_f32_e32 v20, 0xbe11bafb, v40
	v_add_f32_e32 v7, v53, v7
	v_fma_f32 v53, v41, s4, -v49
	v_add_f32_e32 v28, v28, v47
	v_fma_f32 v22, v36, s4, -v22
	v_fmac_f32_e32 v49, 0x3ed4b147, v41
	v_add_f32_e32 v20, v20, v23
	v_mul_f32_e32 v23, 0xbf7d64f0, v42
	v_add_f32_e32 v25, v25, v28
	v_add_f32_e32 v22, v22, v19
	;; [unrolled: 1-line block ×3, first 2 shown]
	v_fma_f32 v21, v41, s1, -v23
	v_fmac_f32_e32 v23, 0xbe11bafb, v41
	s_movk_i32 s0, 0x58
	v_add_f32_e32 v21, v21, v25
	v_fma_f32 v25, v40, s1, -v27
	v_add_f32_e32 v23, v23, v24
	v_mad_u32_u24 v24, v33, s0, 0
	s_movk_i32 s0, 0xffb0
	v_add_f32_e32 v15, v53, v15
	v_add_f32_e32 v22, v25, v22
	ds_write2_b64 v24, v[0:1], v[2:3] offset1:1
	ds_write2_b64 v24, v[4:5], v[6:7] offset0:2 offset1:3
	ds_write2_b64 v24, v[14:15], v[20:21] offset0:4 offset1:5
	;; [unrolled: 1-line block ×4, first 2 shown]
	ds_write_b64 v24, v[10:11] offset:80
	v_mad_i32_i24 v20, v33, s0, v24
	v_add_u32_e32 v0, 0x1200, v20
	v_add_u32_e32 v4, 0x2400, v20
	v_lshl_add_u32 v37, v35, 3, 0
	s_waitcnt lgkmcnt(0)
	s_barrier
	ds_read2_b64 v[0:3], v0 offset0:29 offset1:194
	ds_read2_b64 v[4:7], v4 offset0:58 offset1:223
	ds_read_b64 v[14:15], v37
	v_lshl_add_u32 v38, v34, 3, 0
	ds_read_b64 v[18:19], v20 offset:7480
	ds_read_b64 v[22:23], v20
	ds_read_b64 v[12:13], v38
	ds_read_b64 v[20:21], v20 offset:12320
	v_mul_i32_i24_e32 v25, 0xffffffb0, v33
	s_movk_i32 s0, 0x6e
	v_cmp_gt_u32_e64 s[0:1], s0, v33
	v_add_u32_e32 v36, v24, v25
	v_lshl_add_u32 v39, v26, 3, 0
                                        ; implicit-def: $vgpr25
	s_and_saveexec_b64 s[4:5], s[0:1]
	s_cbranch_execz .LBB0_15
; %bb.14:
	ds_read_b64 v[10:11], v36 offset:8800
	ds_read_b64 v[8:9], v39
	ds_read_b64 v[24:25], v36 offset:13640
.LBB0_15:
	s_or_b64 exec, exec, s[4:5]
	s_mov_b32 s5, 0xba2f
	v_mul_u32_u24_sdwa v27, v34, s5 dst_sel:DWORD dst_unused:UNUSED_PAD src0_sel:WORD_0 src1_sel:DWORD
	v_lshrrev_b32_e32 v56, 19, v27
	v_mul_lo_u16_e32 v27, 11, v56
	v_sub_u16_e32 v57, v34, v27
	v_mul_u32_u24_sdwa v27, v26, s5 dst_sel:DWORD dst_unused:UNUSED_PAD src0_sel:WORD_0 src1_sel:DWORD
	v_lshlrev_b32_e32 v28, 4, v57
	v_lshrrev_b32_e32 v27, 19, v27
	global_load_dwordx4 v[40:43], v28, s[8:9]
	v_mul_lo_u16_e32 v28, 11, v27
	v_sub_u16_e32 v26, v26, v28
	s_movk_i32 s4, 0x75
	v_lshlrev_b32_e32 v28, 4, v26
	global_load_dwordx4 v[44:47], v28, s[8:9]
	v_mul_lo_u16_sdwa v28, v33, s4 dst_sel:DWORD dst_unused:UNUSED_PAD src0_sel:BYTE_0 src1_sel:DWORD
	v_sub_u16_sdwa v29, v33, v28 dst_sel:DWORD dst_unused:UNUSED_PAD src0_sel:DWORD src1_sel:BYTE_1
	v_lshrrev_b16_e32 v29, 1, v29
	v_and_b32_e32 v29, 0x7f, v29
	v_add_u16_sdwa v28, v29, v28 dst_sel:DWORD dst_unused:UNUSED_PAD src0_sel:DWORD src1_sel:BYTE_1
	v_lshrrev_b16_e32 v58, 3, v28
	v_mul_lo_u16_e32 v28, 11, v58
	v_sub_u16_e32 v59, v33, v28
	v_mov_b32_e32 v28, 4
	v_mul_u32_u24_sdwa v29, v35, s5 dst_sel:DWORD dst_unused:UNUSED_PAD src0_sel:WORD_0 src1_sel:DWORD
	v_lshlrev_b32_sdwa v28, v28, v59 dst_sel:DWORD dst_unused:UNUSED_PAD src0_sel:DWORD src1_sel:BYTE_0
	v_lshrrev_b32_e32 v60, 19, v29
	global_load_dwordx4 v[48:51], v28, s[8:9]
	v_mul_lo_u16_e32 v28, 11, v60
	v_sub_u16_e32 v61, v35, v28
	v_lshlrev_b32_e32 v28, 4, v61
	global_load_dwordx4 v[52:55], v28, s[8:9]
	s_waitcnt vmcnt(0) lgkmcnt(0)
	s_barrier
	v_mul_f32_e32 v31, v41, v19
	v_mul_f32_e32 v30, v41, v18
	;; [unrolled: 1-line block ×4, first 2 shown]
	v_fmac_f32_e32 v31, v40, v18
	v_mul_f32_e32 v28, v11, v45
	v_mul_f32_e32 v45, v10, v45
	;; [unrolled: 1-line block ×4, first 2 shown]
	v_fma_f32 v18, v40, v19, -v30
	v_fma_f32 v19, v42, v21, -v43
	v_fmac_f32_e32 v28, v10, v44
	v_fma_f32 v10, v11, v44, -v45
	v_fma_f32 v11, v25, v46, -v47
	v_fmac_f32_e32 v29, v24, v46
	v_fmac_f32_e32 v41, v42, v20
	v_add_f32_e32 v20, v12, v31
	v_mul_f32_e32 v21, v49, v1
	v_mul_f32_e32 v25, v51, v5
	;; [unrolled: 1-line block ×4, first 2 shown]
	v_fmac_f32_e32 v21, v48, v0
	v_fmac_f32_e32 v25, v50, v4
	v_fma_f32 v0, v48, v1, -v24
	v_fma_f32 v1, v50, v5, -v30
	v_add_f32_e32 v5, v21, v25
	v_mul_f32_e32 v40, v53, v3
	v_mul_f32_e32 v42, v53, v2
	;; [unrolled: 1-line block ×4, first 2 shown]
	v_add_f32_e32 v4, v22, v21
	v_fma_f32 v22, -0.5, v5, v22
	v_fmac_f32_e32 v40, v52, v2
	v_fma_f32 v2, v52, v3, -v42
	v_fmac_f32_e32 v43, v54, v6
	v_fma_f32 v3, v54, v7, -v44
	v_sub_f32_e32 v24, v0, v1
	v_add_f32_e32 v6, v23, v0
	v_add_f32_e32 v7, v0, v1
	;; [unrolled: 1-line block ×3, first 2 shown]
	v_mov_b32_e32 v4, v22
	v_fmac_f32_e32 v22, 0x3f5db3d7, v24
	v_fmac_f32_e32 v4, 0xbf5db3d7, v24
	v_add_f32_e32 v24, v20, v41
	v_add_f32_e32 v20, v31, v41
	;; [unrolled: 1-line block ×3, first 2 shown]
	v_fma_f32 v12, -0.5, v20, v12
	v_sub_f32_e32 v44, v2, v3
	v_add_f32_e32 v45, v15, v2
	v_add_f32_e32 v46, v2, v3
	;; [unrolled: 1-line block ×3, first 2 shown]
	v_sub_f32_e32 v20, v18, v19
	v_mov_b32_e32 v30, v12
	v_fmac_f32_e32 v30, 0xbf5db3d7, v20
	v_fmac_f32_e32 v12, 0x3f5db3d7, v20
	v_add_f32_e32 v20, v13, v18
	v_add_f32_e32 v18, v18, v19
	v_fmac_f32_e32 v13, -0.5, v18
	v_sub_f32_e32 v18, v31, v41
	v_mov_b32_e32 v31, v13
	v_fmac_f32_e32 v31, 0x3f5db3d7, v18
	v_fmac_f32_e32 v13, 0xbf5db3d7, v18
	v_add_f32_e32 v18, v28, v29
	v_sub_f32_e32 v21, v21, v25
	v_add_f32_e32 v25, v20, v19
	v_fma_f32 v20, -0.5, v18, v8
	v_fmac_f32_e32 v23, -0.5, v7
	v_sub_f32_e32 v19, v10, v11
	v_mov_b32_e32 v18, v20
	v_fmac_f32_e32 v15, -0.5, v46
	v_mov_b32_e32 v5, v23
	v_fmac_f32_e32 v18, 0xbf5db3d7, v19
	v_fmac_f32_e32 v20, 0x3f5db3d7, v19
	v_add_f32_e32 v19, v10, v11
	v_add_f32_e32 v42, v40, v43
	v_sub_f32_e32 v40, v40, v43
	v_fmac_f32_e32 v23, 0xbf5db3d7, v21
	v_mov_b32_e32 v7, v15
	v_fmac_f32_e32 v5, 0x3f5db3d7, v21
	v_fma_f32 v21, -0.5, v19, v9
	v_fmac_f32_e32 v15, 0xbf5db3d7, v40
	v_fmac_f32_e32 v7, 0x3f5db3d7, v40
	v_sub_f32_e32 v40, v28, v29
	v_mov_b32_e32 v19, v21
	v_mov_b32_e32 v41, 3
	v_fmac_f32_e32 v19, 0x3f5db3d7, v40
	v_fmac_f32_e32 v21, 0xbf5db3d7, v40
	v_mul_u32_u24_e32 v40, 0x108, v58
	v_lshlrev_b32_sdwa v41, v41, v59 dst_sel:DWORD dst_unused:UNUSED_PAD src0_sel:DWORD src1_sel:BYTE_0
	v_add_f32_e32 v1, v6, v1
	v_fma_f32 v14, -0.5, v42, v14
	v_add3_u32 v40, 0, v40, v41
	v_mov_b32_e32 v6, v14
	ds_write2_b64 v40, v[0:1], v[4:5] offset1:11
	ds_write_b64 v40, v[22:23] offset:176
	v_mul_u32_u24_e32 v0, 0x108, v60
	v_lshlrev_b32_e32 v1, 3, v61
	v_add_f32_e32 v3, v45, v3
	v_fmac_f32_e32 v6, 0xbf5db3d7, v44
	v_add3_u32 v0, 0, v0, v1
	v_fmac_f32_e32 v14, 0x3f5db3d7, v44
	ds_write2_b64 v0, v[2:3], v[6:7] offset1:11
	ds_write_b64 v0, v[14:15] offset:176
	v_mul_u32_u24_e32 v0, 0x108, v56
	v_lshlrev_b32_e32 v1, 3, v57
	v_add3_u32 v0, 0, v0, v1
	ds_write2_b64 v0, v[24:25], v[30:31] offset1:11
	ds_write_b64 v0, v[12:13] offset:176
	s_and_saveexec_b64 s[4:5], s[0:1]
	s_cbranch_execz .LBB0_17
; %bb.16:
	v_add_f32_e32 v0, v9, v10
	v_mul_lo_u16_e32 v2, 33, v27
	v_add_f32_e32 v1, v0, v11
	v_add_f32_e32 v0, v8, v28
	v_lshlrev_b32_e32 v3, 3, v26
	v_lshlrev_b32_e32 v2, 3, v2
	v_add_f32_e32 v0, v0, v29
	v_add3_u32 v2, 0, v3, v2
	ds_write2_b64 v2, v[0:1], v[18:19] offset1:11
	ds_write_b64 v2, v[20:21] offset:176
.LBB0_17:
	s_or_b64 exec, exec, s[4:5]
	v_add_u32_e32 v0, 0xa00, v36
	s_waitcnt lgkmcnt(0)
	s_barrier
	ds_read2_b64 v[12:15], v0 offset0:43 offset1:208
	v_add_u32_e32 v0, 0x1400, v36
	ds_read2_b64 v[8:11], v0 offset0:86 offset1:251
	v_add_u32_e32 v0, 0x2000, v36
	;; [unrolled: 2-line block ×3, first 2 shown]
	ds_read2_b64 v[0:3], v0 offset0:44 offset1:209
	ds_read_b64 v[30:31], v36
	ds_read_b64 v[28:29], v37
	v_cmp_gt_u32_e64 s[0:1], 33, v33
                                        ; implicit-def: $vgpr23
                                        ; implicit-def: $vgpr27
                                        ; implicit-def: $vgpr25
	s_and_saveexec_b64 s[4:5], s[0:1]
	s_cbranch_execz .LBB0_19
; %bb.18:
	ds_read_b64 v[18:19], v38
	ds_read_b64 v[20:21], v36 offset:5544
	ds_read_b64 v[24:25], v36 offset:8448
	;; [unrolled: 1-line block ×4, first 2 shown]
.LBB0_19:
	s_or_b64 exec, exec, s[4:5]
	s_movk_i32 s4, 0xf9
	v_mul_lo_u16_sdwa v40, v33, s4 dst_sel:DWORD dst_unused:UNUSED_PAD src0_sel:BYTE_0 src1_sel:DWORD
	v_lshrrev_b16_e32 v48, 13, v40
	v_mul_lo_u16_e32 v40, 33, v48
	v_sub_u16_e32 v49, v33, v40
	v_mov_b32_e32 v40, 5
	v_lshlrev_b32_sdwa v50, v40, v49 dst_sel:DWORD dst_unused:UNUSED_PAD src0_sel:DWORD src1_sel:BYTE_0
	global_load_dwordx4 v[40:43], v50, s[8:9] offset:192
	global_load_dwordx4 v[44:47], v50, s[8:9] offset:176
	s_mov_b32 s6, 0xf83f
	s_waitcnt vmcnt(0) lgkmcnt(5)
	v_mul_f32_e32 v50, v45, v13
	v_fmac_f32_e32 v50, v44, v12
	v_mul_f32_e32 v12, v45, v12
	v_fma_f32 v12, v44, v13, -v12
	s_waitcnt lgkmcnt(4)
	v_mul_f32_e32 v13, v47, v9
	v_fmac_f32_e32 v13, v46, v8
	v_mul_f32_e32 v8, v47, v8
	v_fma_f32 v8, v46, v9, -v8
	s_waitcnt lgkmcnt(3)
	;; [unrolled: 5-line block ×3, first 2 shown]
	v_mul_f32_e32 v5, v43, v1
	v_fmac_f32_e32 v5, v42, v0
	v_mul_f32_e32 v0, v43, v0
	v_fma_f32 v52, v42, v1, -v0
	v_mul_u32_u24_sdwa v0, v35, s6 dst_sel:DWORD dst_unused:UNUSED_PAD src0_sel:WORD_0 src1_sel:DWORD
	v_lshrrev_b32_e32 v53, 21, v0
	v_mul_lo_u16_e32 v0, 33, v53
	v_sub_u16_e32 v35, v35, v0
	v_lshlrev_b32_e32 v0, 5, v35
	global_load_dwordx4 v[40:43], v0, s[8:9] offset:192
	global_load_dwordx4 v[44:47], v0, s[8:9] offset:176
	v_add_f32_e32 v1, v13, v9
	s_waitcnt vmcnt(0) lgkmcnt(0)
	s_barrier
	v_mul_f32_e32 v54, v45, v15
	v_mul_f32_e32 v0, v45, v14
	v_fmac_f32_e32 v54, v44, v14
	v_fma_f32 v44, v44, v15, -v0
	v_mul_f32_e32 v15, v47, v11
	v_mul_f32_e32 v0, v47, v10
	v_fmac_f32_e32 v15, v46, v10
	v_fma_f32 v45, v46, v11, -v0
	v_mul_f32_e32 v46, v41, v7
	v_mul_f32_e32 v0, v41, v6
	;; [unrolled: 1-line block ×3, first 2 shown]
	v_fmac_f32_e32 v46, v40, v6
	v_fma_f32 v40, v40, v7, -v0
	v_fmac_f32_e32 v41, v42, v2
	v_mul_f32_e32 v0, v43, v2
	v_fma_f32 v2, -0.5, v1, v30
	v_sub_f32_e32 v1, v12, v52
	v_mov_b32_e32 v4, v2
	v_fma_f32 v42, v42, v3, -v0
	v_fmac_f32_e32 v4, 0xbf737871, v1
	v_sub_f32_e32 v3, v8, v51
	v_sub_f32_e32 v6, v50, v13
	;; [unrolled: 1-line block ×3, first 2 shown]
	v_fmac_f32_e32 v2, 0x3f737871, v1
	v_fmac_f32_e32 v4, 0xbf167918, v3
	v_add_f32_e32 v6, v6, v7
	v_fmac_f32_e32 v2, 0x3f167918, v3
	v_fmac_f32_e32 v4, 0x3e9e377a, v6
	;; [unrolled: 1-line block ×3, first 2 shown]
	v_add_f32_e32 v6, v50, v5
	v_add_f32_e32 v0, v30, v50
	v_fma_f32 v30, -0.5, v6, v30
	v_mov_b32_e32 v6, v30
	v_add_f32_e32 v0, v0, v13
	v_fmac_f32_e32 v6, 0x3f737871, v3
	v_fmac_f32_e32 v30, 0xbf737871, v3
	v_add_f32_e32 v3, v8, v51
	v_add_f32_e32 v0, v0, v9
	v_sub_f32_e32 v7, v13, v50
	v_sub_f32_e32 v10, v9, v5
	v_fma_f32 v3, -0.5, v3, v31
	v_add_f32_e32 v0, v0, v5
	v_fmac_f32_e32 v6, 0xbf167918, v1
	v_add_f32_e32 v7, v7, v10
	v_fmac_f32_e32 v30, 0x3f167918, v1
	v_sub_f32_e32 v10, v50, v5
	v_mov_b32_e32 v5, v3
	v_fmac_f32_e32 v6, 0x3e9e377a, v7
	v_fmac_f32_e32 v30, 0x3e9e377a, v7
	;; [unrolled: 1-line block ×3, first 2 shown]
	v_sub_f32_e32 v9, v13, v9
	v_sub_f32_e32 v7, v12, v8
	;; [unrolled: 1-line block ×3, first 2 shown]
	v_fmac_f32_e32 v3, 0xbf737871, v10
	v_fmac_f32_e32 v5, 0x3f167918, v9
	v_add_f32_e32 v7, v7, v11
	v_fmac_f32_e32 v3, 0xbf167918, v9
	v_fmac_f32_e32 v5, 0x3e9e377a, v7
	;; [unrolled: 1-line block ×3, first 2 shown]
	v_add_f32_e32 v7, v12, v52
	v_add_f32_e32 v1, v31, v12
	v_fmac_f32_e32 v31, -0.5, v7
	v_mov_b32_e32 v7, v31
	v_fmac_f32_e32 v7, 0xbf737871, v9
	v_fmac_f32_e32 v31, 0x3f737871, v9
	v_add_f32_e32 v9, v15, v46
	v_fmac_f32_e32 v7, 0x3f167918, v10
	v_fmac_f32_e32 v31, 0xbf167918, v10
	v_fma_f32 v10, -0.5, v9, v28
	v_add_f32_e32 v1, v1, v8
	v_sub_f32_e32 v8, v8, v12
	v_sub_f32_e32 v11, v51, v52
	;; [unrolled: 1-line block ×3, first 2 shown]
	v_mov_b32_e32 v12, v10
	v_add_f32_e32 v8, v8, v11
	v_fmac_f32_e32 v12, 0xbf737871, v9
	v_sub_f32_e32 v11, v45, v40
	v_sub_f32_e32 v13, v54, v15
	;; [unrolled: 1-line block ×3, first 2 shown]
	v_fmac_f32_e32 v10, 0x3f737871, v9
	v_fmac_f32_e32 v12, 0xbf167918, v11
	v_add_f32_e32 v13, v13, v14
	v_fmac_f32_e32 v10, 0x3f167918, v11
	v_fmac_f32_e32 v12, 0x3e9e377a, v13
	;; [unrolled: 1-line block ×3, first 2 shown]
	v_add_f32_e32 v13, v54, v41
	v_fmac_f32_e32 v7, 0x3e9e377a, v8
	v_fmac_f32_e32 v31, 0x3e9e377a, v8
	v_add_f32_e32 v8, v28, v54
	v_fma_f32 v28, -0.5, v13, v28
	v_mov_b32_e32 v14, v28
	v_add_f32_e32 v8, v8, v15
	v_fmac_f32_e32 v14, 0x3f737871, v11
	v_sub_f32_e32 v13, v15, v54
	v_sub_f32_e32 v43, v46, v41
	v_fmac_f32_e32 v28, 0xbf737871, v11
	v_add_f32_e32 v11, v45, v40
	v_add_f32_e32 v8, v8, v46
	v_fmac_f32_e32 v14, 0xbf167918, v9
	v_add_f32_e32 v13, v13, v43
	v_fmac_f32_e32 v28, 0x3f167918, v9
	v_fma_f32 v11, -0.5, v11, v29
	v_add_f32_e32 v8, v8, v41
	v_fmac_f32_e32 v14, 0x3e9e377a, v13
	v_fmac_f32_e32 v28, 0x3e9e377a, v13
	v_sub_f32_e32 v41, v54, v41
	v_mov_b32_e32 v13, v11
	v_fmac_f32_e32 v13, 0x3f737871, v41
	v_sub_f32_e32 v43, v15, v46
	v_sub_f32_e32 v15, v44, v45
	;; [unrolled: 1-line block ×3, first 2 shown]
	v_fmac_f32_e32 v11, 0xbf737871, v41
	v_fmac_f32_e32 v13, 0x3f167918, v43
	v_add_f32_e32 v15, v15, v46
	v_fmac_f32_e32 v11, 0xbf167918, v43
	v_fmac_f32_e32 v13, 0x3e9e377a, v15
	;; [unrolled: 1-line block ×3, first 2 shown]
	v_add_f32_e32 v15, v44, v42
	v_add_f32_e32 v9, v29, v44
	v_fmac_f32_e32 v29, -0.5, v15
	v_add_f32_e32 v9, v9, v45
	v_mov_b32_e32 v15, v29
	v_add_f32_e32 v9, v9, v40
	v_fmac_f32_e32 v15, 0xbf737871, v43
	v_sub_f32_e32 v44, v45, v44
	v_sub_f32_e32 v40, v40, v42
	v_fmac_f32_e32 v29, 0x3f737871, v43
	v_fmac_f32_e32 v15, 0x3f167918, v41
	v_add_f32_e32 v40, v44, v40
	v_fmac_f32_e32 v29, 0xbf167918, v41
	v_mov_b32_e32 v41, 3
	v_add_f32_e32 v1, v1, v51
	v_fmac_f32_e32 v15, 0x3e9e377a, v40
	v_fmac_f32_e32 v29, 0x3e9e377a, v40
	v_mul_u32_u24_e32 v40, 0x528, v48
	v_lshlrev_b32_sdwa v41, v41, v49 dst_sel:DWORD dst_unused:UNUSED_PAD src0_sel:DWORD src1_sel:BYTE_0
	v_add_f32_e32 v1, v1, v52
	v_add3_u32 v40, 0, v40, v41
	ds_write2_b64 v40, v[0:1], v[4:5] offset1:33
	ds_write2_b64 v40, v[6:7], v[30:31] offset0:66 offset1:99
	ds_write_b64 v40, v[2:3] offset:1056
	v_mul_u32_u24_e32 v0, 0x528, v53
	v_lshlrev_b32_e32 v1, 3, v35
	v_add_f32_e32 v9, v9, v42
	v_add3_u32 v0, 0, v0, v1
	ds_write2_b64 v0, v[8:9], v[12:13] offset1:33
	ds_write2_b64 v0, v[14:15], v[28:29] offset0:66 offset1:99
	ds_write_b64 v0, v[10:11] offset:1056
	s_and_saveexec_b64 s[4:5], s[0:1]
	s_cbranch_execz .LBB0_21
; %bb.20:
	v_mul_u32_u24_sdwa v0, v34, s6 dst_sel:DWORD dst_unused:UNUSED_PAD src0_sel:WORD_0 src1_sel:DWORD
	v_lshrrev_b32_e32 v0, 21, v0
	v_mul_lo_u16_e32 v0, 33, v0
	v_sub_u16_e32 v8, v34, v0
	v_lshlrev_b32_e32 v9, 5, v8
	global_load_dwordx4 v[0:3], v9, s[8:9] offset:176
	global_load_dwordx4 v[4:7], v9, s[8:9] offset:192
	v_lshl_add_u32 v10, v8, 3, 0
	v_add_u32_e32 v11, 0x3000, v10
	s_waitcnt vmcnt(1)
	v_mul_f32_e32 v8, v24, v3
	v_mul_f32_e32 v9, v20, v1
	s_waitcnt vmcnt(0)
	v_mul_f32_e32 v12, v26, v5
	v_mul_f32_e32 v13, v22, v7
	;; [unrolled: 1-line block ×6, first 2 shown]
	v_fma_f32 v5, v25, v2, -v8
	v_fma_f32 v3, v21, v0, -v9
	;; [unrolled: 1-line block ×4, first 2 shown]
	v_fmac_f32_e32 v14, v24, v2
	v_fmac_f32_e32 v15, v26, v4
	;; [unrolled: 1-line block ×4, first 2 shown]
	v_sub_f32_e32 v0, v5, v3
	v_sub_f32_e32 v2, v8, v9
	v_add_f32_e32 v4, v3, v9
	v_add_f32_e32 v20, v5, v8
	;; [unrolled: 1-line block ×5, first 2 shown]
	v_sub_f32_e32 v13, v1, v28
	v_sub_f32_e32 v6, v3, v5
	;; [unrolled: 1-line block ×6, first 2 shown]
	v_add_f32_e32 v31, v18, v1
	v_add_f32_e32 v34, v0, v2
	v_fma_f32 v1, -0.5, v4, v19
	v_fma_f32 v3, -0.5, v20, v19
	v_add_f32_e32 v4, v21, v5
	v_fma_f32 v0, -0.5, v25, v18
	v_fma_f32 v2, -0.5, v30, v18
	v_sub_f32_e32 v12, v14, v15
	v_sub_f32_e32 v26, v5, v8
	v_sub_f32_e32 v29, v28, v15
	v_add_f32_e32 v35, v6, v7
	v_add_f32_e32 v14, v31, v14
	v_mov_b32_e32 v5, v1
	v_mov_b32_e32 v7, v3
	v_fmac_f32_e32 v3, 0x3f737871, v13
	v_add_f32_e32 v8, v4, v8
	v_mov_b32_e32 v4, v0
	v_mov_b32_e32 v6, v2
	v_fmac_f32_e32 v2, 0xbf737871, v24
	v_sub_f32_e32 v23, v15, v28
	v_add_f32_e32 v20, v27, v29
	v_fmac_f32_e32 v1, 0xbf737871, v12
	v_fmac_f32_e32 v0, 0x3f737871, v26
	v_add_f32_e32 v14, v14, v15
	v_fmac_f32_e32 v5, 0x3f737871, v12
	v_fmac_f32_e32 v7, 0xbf737871, v13
	;; [unrolled: 1-line block ×6, first 2 shown]
	v_add_f32_e32 v19, v22, v23
	v_fmac_f32_e32 v1, 0x3f167918, v13
	v_add_f32_e32 v9, v8, v9
	v_fmac_f32_e32 v0, 0xbf167918, v24
	;; [unrolled: 2-line block ×3, first 2 shown]
	v_fmac_f32_e32 v7, 0xbf167918, v12
	v_fmac_f32_e32 v3, 0x3e9e377a, v35
	;; [unrolled: 1-line block ×11, first 2 shown]
	ds_write2_b64 v11, v[8:9], v[2:3] offset0:114 offset1:147
	ds_write2_b64 v11, v[0:1], v[4:5] offset0:180 offset1:213
	ds_write_b64 v10, v[6:7] offset:14256
.LBB0_21:
	s_or_b64 exec, exec, s[4:5]
	s_waitcnt lgkmcnt(0)
	s_barrier
	s_and_saveexec_b64 s[0:1], vcc
	s_cbranch_execz .LBB0_23
; %bb.22:
	v_mul_u32_u24_e32 v0, 10, v33
	v_lshlrev_b32_e32 v22, 3, v0
	global_load_dwordx4 v[0:3], v22, s[8:9] offset:1296
	global_load_dwordx4 v[4:7], v22, s[8:9] offset:1232
	;; [unrolled: 1-line block ×5, first 2 shown]
	ds_read_b64 v[30:31], v39
	ds_read_b64 v[39:40], v36 offset:13200
	ds_read_b64 v[41:42], v36
	ds_read_b64 v[43:44], v37
	;; [unrolled: 1-line block ×3, first 2 shown]
	v_add_u32_e32 v22, 0x2800, v36
	v_add_u32_e32 v26, 0x1e00, v36
	;; [unrolled: 1-line block ×3, first 2 shown]
	ds_read2_b64 v[22:25], v22 offset0:40 offset1:205
	ds_read2_b64 v[26:29], v26 offset0:30 offset1:195
	;; [unrolled: 1-line block ×3, first 2 shown]
	s_mov_b32 s4, 0xbf75a155
	s_mov_b32 s0, 0x3f575c64
	;; [unrolled: 1-line block ×5, first 2 shown]
	s_waitcnt vmcnt(4) lgkmcnt(6)
	v_mul_f32_e32 v45, v3, v39
	s_waitcnt vmcnt(3) lgkmcnt(4)
	v_mul_f32_e32 v46, v5, v43
	s_waitcnt lgkmcnt(3)
	v_mul_f32_e32 v49, v7, v38
	v_mul_f32_e32 v47, v5, v44
	;; [unrolled: 1-line block ×3, first 2 shown]
	s_waitcnt lgkmcnt(2)
	v_mul_f32_e32 v5, v1, v24
	v_mul_f32_e32 v48, v7, v37
	s_waitcnt vmcnt(2)
	v_mul_f32_e32 v7, v11, v22
	v_mul_f32_e32 v22, v10, v22
	s_waitcnt lgkmcnt(1)
	v_mul_f32_e32 v51, v9, v28
	v_fma_f32 v44, v4, v44, -v46
	v_fmac_f32_e32 v49, v6, v37
	v_fma_f32 v37, v2, v40, -v45
	v_mul_f32_e32 v24, v0, v24
	s_waitcnt vmcnt(1)
	v_mul_f32_e32 v50, v13, v30
	v_mul_f32_e32 v13, v13, v31
	s_waitcnt lgkmcnt(0)
	v_mul_f32_e32 v52, v15, v33
	v_mul_f32_e32 v15, v15, v34
	;; [unrolled: 1-line block ×3, first 2 shown]
	s_waitcnt vmcnt(0)
	v_mul_f32_e32 v53, v21, v26
	v_mul_f32_e32 v54, v19, v35
	v_fma_f32 v38, v6, v38, -v48
	v_fmac_f32_e32 v39, v40, v3
	v_fma_f32 v40, v0, v25, -v5
	v_fmac_f32_e32 v22, v23, v11
	v_fma_f32 v11, v8, v29, -v51
	v_add_f32_e32 v8, v37, v44
	v_mul_f32_e32 v19, v19, v36
	v_mul_f32_e32 v26, v20, v26
	v_fmac_f32_e32 v47, v4, v43
	v_fmac_f32_e32 v24, v25, v1
	v_fma_f32 v10, v10, v23, -v7
	v_fma_f32 v25, v12, v31, -v50
	v_fmac_f32_e32 v13, v12, v30
	v_fma_f32 v12, v14, v34, -v52
	v_fmac_f32_e32 v15, v14, v33
	v_fmac_f32_e32 v28, v29, v9
	v_fma_f32 v14, v20, v27, -v53
	v_fma_f32 v20, v18, v36, -v54
	v_add_f32_e32 v9, v40, v38
	v_mul_f32_e32 v36, 0xbf75a155, v8
	v_fmac_f32_e32 v19, v18, v35
	v_sub_f32_e32 v23, v47, v39
	v_add_f32_e32 v18, v10, v25
	v_mul_f32_e32 v43, 0x3f575c64, v9
	v_mov_b32_e32 v0, v36
	v_fmac_f32_e32 v26, v27, v21
	v_sub_f32_e32 v27, v49, v24
	v_add_f32_e32 v21, v11, v12
	v_mul_f32_e32 v45, 0xbf27a4f4, v18
	v_mov_b32_e32 v1, v43
	v_fmac_f32_e32 v0, 0x3e903f40, v23
	v_sub_f32_e32 v29, v13, v22
	v_add_f32_e32 v31, v14, v20
	v_sub_f32_e32 v35, v44, v37
	v_mul_f32_e32 v46, 0x3ed4b147, v21
	v_mov_b32_e32 v2, v45
	v_fmac_f32_e32 v1, 0xbf0a6770, v27
	v_add_f32_e32 v0, v0, v42
	v_sub_f32_e32 v30, v15, v28
	v_mul_f32_e32 v48, 0xbe11bafb, v31
	v_mul_f32_e32 v50, 0xbe903f40, v35
	v_mov_b32_e32 v3, v46
	v_fmac_f32_e32 v2, 0x3f4178ce, v29
	v_add_f32_e32 v0, v0, v1
	v_sub_f32_e32 v52, v38, v40
	v_sub_f32_e32 v33, v19, v26
	v_add_f32_e32 v34, v39, v47
	v_mov_b32_e32 v4, v48
	v_mov_b32_e32 v5, v50
	v_fmac_f32_e32 v3, 0xbf68dda4, v30
	v_add_f32_e32 v0, v0, v2
	v_mul_f32_e32 v53, 0x3f0a6770, v52
	v_fmac_f32_e32 v4, 0x3f7d64f0, v33
	v_fmac_f32_e32 v5, 0xbf75a155, v34
	v_add_f32_e32 v0, v0, v3
	v_add_f32_e32 v51, v24, v49
	v_mov_b32_e32 v2, v53
	v_sub_f32_e32 v55, v25, v10
	v_add_f32_e32 v1, v0, v4
	v_add_f32_e32 v0, v5, v41
	v_fmac_f32_e32 v2, 0x3f575c64, v51
	v_mul_f32_e32 v56, 0xbf4178ce, v55
	v_add_f32_e32 v0, v0, v2
	v_add_f32_e32 v54, v22, v13
	v_mov_b32_e32 v2, v56
	v_sub_f32_e32 v58, v12, v11
	v_fmac_f32_e32 v2, 0xbf27a4f4, v54
	v_mul_f32_e32 v59, 0x3f68dda4, v58
	v_add_f32_e32 v0, v0, v2
	v_add_f32_e32 v57, v28, v15
	v_mov_b32_e32 v2, v59
	v_sub_f32_e32 v61, v20, v14
	v_fmac_f32_e32 v2, 0x3ed4b147, v57
	v_mul_f32_e32 v62, 0xbf7d64f0, v61
	v_add_f32_e32 v0, v0, v2
	v_add_f32_e32 v60, v26, v19
	v_mov_b32_e32 v2, v62
	v_fmac_f32_e32 v2, 0xbe11bafb, v60
	v_mul_f32_e32 v63, 0xbf27a4f4, v8
	v_add_f32_e32 v0, v0, v2
	v_mov_b32_e32 v2, v63
	v_mul_f32_e32 v64, 0xbe11bafb, v9
	v_fmac_f32_e32 v2, 0x3f4178ce, v23
	v_mov_b32_e32 v3, v64
	v_add_f32_e32 v2, v2, v42
	v_fmac_f32_e32 v3, 0xbf7d64f0, v27
	v_mul_f32_e32 v65, 0x3f575c64, v18
	v_add_f32_e32 v2, v2, v3
	v_mov_b32_e32 v3, v65
	v_fmac_f32_e32 v3, 0x3f0a6770, v29
	v_mul_f32_e32 v66, 0xbf75a155, v21
	v_add_f32_e32 v2, v2, v3
	v_mov_b32_e32 v3, v66
	;; [unrolled: 4-line block ×3, first 2 shown]
	v_mul_f32_e32 v68, 0x3f7d64f0, v52
	v_fmac_f32_e32 v3, 0xbf27a4f4, v34
	v_mov_b32_e32 v4, v68
	v_add_f32_e32 v3, v3, v41
	v_fmac_f32_e32 v4, 0xbe11bafb, v51
	v_mul_f32_e32 v69, 0xbf0a6770, v55
	v_add_f32_e32 v3, v3, v4
	v_mov_b32_e32 v4, v69
	v_fmac_f32_e32 v4, 0x3f575c64, v54
	v_mul_f32_e32 v70, 0xbe903f40, v58
	v_add_f32_e32 v3, v3, v4
	v_mov_b32_e32 v4, v70
	;; [unrolled: 4-line block ×5, first 2 shown]
	v_mul_f32_e32 v74, 0xbf75a155, v9
	v_fmac_f32_e32 v4, 0x3f7d64f0, v23
	v_mov_b32_e32 v5, v74
	v_add_f32_e32 v4, v4, v42
	v_fmac_f32_e32 v5, 0xbe903f40, v27
	v_mul_f32_e32 v75, 0x3ed4b147, v18
	v_add_f32_e32 v4, v4, v5
	v_mov_b32_e32 v5, v75
	v_fmac_f32_e32 v5, 0xbf68dda4, v29
	v_mul_f32_e32 v76, 0x3f575c64, v21
	v_add_f32_e32 v4, v4, v5
	v_mov_b32_e32 v5, v76
	v_fmac_f32_e32 v5, 0x3f0a6770, v30
	v_mul_f32_e32 v77, 0xbf7d64f0, v35
	v_add_f32_e32 v4, v4, v5
	v_mov_b32_e32 v5, v77
	v_mul_f32_e32 v78, 0x3e903f40, v52
	v_fmac_f32_e32 v5, 0xbe11bafb, v34
	v_mov_b32_e32 v6, v78
	v_add_f32_e32 v5, v5, v41
	v_fmac_f32_e32 v6, 0xbf75a155, v51
	v_mul_f32_e32 v79, 0x3f68dda4, v55
	v_add_f32_e32 v5, v5, v6
	v_mov_b32_e32 v6, v79
	v_fmac_f32_e32 v6, 0x3ed4b147, v54
	v_mul_f32_e32 v80, 0xbf0a6770, v58
	v_add_f32_e32 v5, v5, v6
	v_mov_b32_e32 v6, v80
	v_fmac_f32_e32 v6, 0x3f575c64, v57
	v_mul_f32_e32 v81, 0xbf27a4f4, v31
	v_add_f32_e32 v6, v5, v6
	v_mov_b32_e32 v5, v81
	v_fmac_f32_e32 v5, 0x3f4178ce, v33
	v_mul_f32_e32 v82, 0xbf4178ce, v61
	v_add_f32_e32 v5, v4, v5
	v_mov_b32_e32 v4, v82
	v_fmac_f32_e32 v4, 0xbf27a4f4, v60
	v_mul_f32_e32 v83, 0x3ed4b147, v8
	v_add_f32_e32 v4, v6, v4
	v_mov_b32_e32 v6, v83
	v_mul_f32_e32 v84, 0xbf27a4f4, v9
	v_fmac_f32_e32 v6, 0x3f68dda4, v23
	v_mov_b32_e32 v7, v84
	v_add_f32_e32 v6, v6, v42
	v_fmac_f32_e32 v7, 0x3f4178ce, v27
	v_mul_f32_e32 v85, 0xbf75a155, v18
	v_add_f32_e32 v6, v6, v7
	v_mov_b32_e32 v7, v85
	v_fmac_f32_e32 v7, 0xbe903f40, v29
	v_mul_f32_e32 v86, 0xbe11bafb, v21
	v_add_f32_e32 v6, v6, v7
	v_mov_b32_e32 v7, v86
	;; [unrolled: 4-line block ×3, first 2 shown]
	v_mul_f32_e32 v88, 0xbf4178ce, v52
	v_fmac_f32_e32 v7, 0x3ed4b147, v34
	v_mov_b32_e32 v89, v88
	v_add_f32_e32 v7, v7, v41
	v_fmac_f32_e32 v89, 0xbf27a4f4, v51
	v_add_f32_e32 v7, v7, v89
	v_mul_f32_e32 v89, 0x3e903f40, v55
	v_mov_b32_e32 v90, v89
	v_fmac_f32_e32 v90, 0xbf75a155, v54
	v_add_f32_e32 v7, v7, v90
	v_mul_f32_e32 v90, 0x3f7d64f0, v58
	v_mov_b32_e32 v91, v90
	v_fmac_f32_e32 v91, 0xbe11bafb, v57
	v_mul_f32_e32 v92, 0x3f575c64, v31
	v_add_f32_e32 v91, v7, v91
	v_mov_b32_e32 v7, v92
	v_fmac_f32_e32 v7, 0xbf0a6770, v33
	v_mul_f32_e32 v93, 0x3f0a6770, v61
	v_add_f32_e32 v7, v6, v7
	v_mov_b32_e32 v6, v93
	v_fmac_f32_e32 v6, 0x3f575c64, v60
	v_add_f32_e32 v6, v91, v6
	v_mul_f32_e32 v91, 0x3f575c64, v8
	v_mov_b32_e32 v8, v91
	v_mul_f32_e32 v94, 0x3ed4b147, v9
	v_fmac_f32_e32 v8, 0x3f0a6770, v23
	v_mov_b32_e32 v9, v94
	v_add_f32_e32 v8, v8, v42
	v_fmac_f32_e32 v9, 0x3f68dda4, v27
	v_mul_f32_e32 v95, 0xbe11bafb, v18
	v_add_f32_e32 v8, v8, v9
	v_mov_b32_e32 v9, v95
	v_fmac_f32_e32 v9, 0x3f7d64f0, v29
	v_mul_f32_e32 v96, 0xbf27a4f4, v21
	v_add_f32_e32 v8, v8, v9
	v_mov_b32_e32 v9, v96
	;; [unrolled: 4-line block ×3, first 2 shown]
	v_mul_f32_e32 v52, 0xbf68dda4, v52
	v_fmac_f32_e32 v9, 0x3f575c64, v34
	v_mov_b32_e32 v18, v52
	v_add_f32_e32 v9, v9, v41
	v_fmac_f32_e32 v18, 0x3ed4b147, v51
	v_mul_f32_e32 v55, 0xbf7d64f0, v55
	v_add_f32_e32 v9, v9, v18
	v_mov_b32_e32 v18, v55
	v_fmac_f32_e32 v18, 0xbe11bafb, v54
	v_mul_f32_e32 v58, 0xbf4178ce, v58
	v_add_f32_e32 v9, v9, v18
	v_mov_b32_e32 v18, v58
	;; [unrolled: 4-line block ×4, first 2 shown]
	v_fmac_f32_e32 v8, 0xbf75a155, v60
	v_add_f32_e32 v8, v18, v8
	v_add_f32_e32 v18, v44, v42
	;; [unrolled: 1-line block ×19, first 2 shown]
	v_fmac_f32_e32 v36, 0xbe903f40, v23
	v_add_f32_e32 v11, v37, v10
	v_add_f32_e32 v10, v39, v12
	;; [unrolled: 1-line block ×3, first 2 shown]
	v_fmac_f32_e32 v43, 0x3f0a6770, v27
	v_fma_f32 v13, v34, s4, -v50
	v_add_f32_e32 v12, v12, v43
	v_fmac_f32_e32 v45, 0xbf4178ce, v29
	v_add_f32_e32 v13, v13, v41
	v_fma_f32 v14, v51, s0, -v53
	v_add_f32_e32 v12, v12, v45
	v_fmac_f32_e32 v46, 0x3f68dda4, v30
	v_add_f32_e32 v13, v13, v14
	v_fma_f32 v14, v54, s5, -v56
	v_add_f32_e32 v12, v12, v46
	v_add_f32_e32 v13, v13, v14
	v_fma_f32 v14, v57, s1, -v59
	v_fmac_f32_e32 v48, 0xbf7d64f0, v33
	v_add_f32_e32 v14, v13, v14
	v_add_f32_e32 v13, v12, v48
	v_fma_f32 v12, v60, s6, -v62
	v_fmac_f32_e32 v63, 0xbf4178ce, v23
	v_add_f32_e32 v12, v14, v12
	v_add_f32_e32 v14, v63, v42
	v_fmac_f32_e32 v64, 0x3f7d64f0, v27
	v_fma_f32 v15, v34, s5, -v67
	v_add_f32_e32 v14, v14, v64
	v_fmac_f32_e32 v65, 0xbf0a6770, v29
	v_add_f32_e32 v15, v15, v41
	v_fma_f32 v18, v51, s6, -v68
	v_add_f32_e32 v14, v14, v65
	v_fmac_f32_e32 v66, 0xbe903f40, v30
	v_add_f32_e32 v15, v15, v18
	v_fma_f32 v18, v54, s0, -v69
	v_add_f32_e32 v14, v14, v66
	v_add_f32_e32 v15, v15, v18
	v_fma_f32 v18, v57, s4, -v70
	v_fmac_f32_e32 v71, 0x3f68dda4, v33
	v_add_f32_e32 v18, v15, v18
	v_add_f32_e32 v15, v14, v71
	v_fma_f32 v14, v60, s1, -v72
	v_fmac_f32_e32 v73, 0xbf7d64f0, v23
	v_add_f32_e32 v14, v18, v14
	v_add_f32_e32 v18, v73, v42
	v_fmac_f32_e32 v74, 0x3e903f40, v27
	v_add_f32_e32 v18, v18, v74
	v_fmac_f32_e32 v75, 0x3f68dda4, v29
	;; [unrolled: 2-line block ×4, first 2 shown]
	v_add_f32_e32 v19, v18, v81
	v_fma_f32 v18, v34, s6, -v77
	v_add_f32_e32 v18, v18, v41
	v_fma_f32 v20, v51, s4, -v78
	;; [unrolled: 2-line block ×5, first 2 shown]
	v_fmac_f32_e32 v83, 0xbf68dda4, v23
	v_add_f32_e32 v18, v18, v20
	v_add_f32_e32 v20, v83, v42
	v_fmac_f32_e32 v84, 0xbf4178ce, v27
	v_add_f32_e32 v20, v20, v84
	v_fmac_f32_e32 v85, 0x3e903f40, v29
	;; [unrolled: 2-line block ×4, first 2 shown]
	v_add_f32_e32 v21, v20, v92
	v_fma_f32 v20, v34, s1, -v87
	v_add_f32_e32 v20, v20, v41
	v_fma_f32 v22, v51, s5, -v88
	;; [unrolled: 2-line block ×5, first 2 shown]
	v_fmac_f32_e32 v91, 0xbf0a6770, v23
	v_add_f32_e32 v20, v20, v22
	v_add_f32_e32 v22, v91, v42
	v_fmac_f32_e32 v94, 0xbf68dda4, v27
	v_add_f32_e32 v22, v22, v94
	v_fmac_f32_e32 v95, 0xbf7d64f0, v29
	;; [unrolled: 2-line block ×4, first 2 shown]
	v_add_f32_e32 v23, v22, v31
	v_fma_f32 v22, v34, s0, -v35
	v_add_f32_e32 v22, v22, v41
	v_fma_f32 v24, v51, s1, -v52
	v_add_f32_e32 v22, v22, v24
	v_mad_u64_u32 v[24:25], s[0:1], s2, v32, 0
	v_fma_f32 v26, v54, s6, -v55
	v_add_f32_e32 v27, v22, v26
	v_mov_b32_e32 v22, v25
	v_fma_f32 v28, v57, s5, -v58
	v_mad_u64_u32 v[25:26], s[0:1], s3, v32, v[22:23]
	v_add_f32_e32 v22, v27, v28
	v_fma_f32 v26, v60, s4, -v61
	v_add_f32_e32 v22, v22, v26
	v_mov_b32_e32 v26, s13
	v_add_co_u32_e32 v28, vcc, s12, v16
	v_addc_co_u32_e32 v29, vcc, v26, v17, vcc
	v_add_u32_e32 v26, 0xa5, v32
	v_lshlrev_b64 v[16:17], 3, v[24:25]
	v_mad_u64_u32 v[24:25], s[0:1], s2, v26, 0
	v_add_u32_e32 v30, 0x14a, v32
	v_add_co_u32_e32 v16, vcc, v28, v16
	v_mad_u64_u32 v[25:26], s[0:1], s3, v26, v[25:26]
	v_mad_u64_u32 v[26:27], s[0:1], s2, v30, 0
	v_addc_co_u32_e32 v17, vcc, v29, v17, vcc
	global_store_dwordx2 v[16:17], v[10:11], off
	v_mov_b32_e32 v16, v27
	v_mad_u64_u32 v[16:17], s[0:1], s3, v30, v[16:17]
	v_lshlrev_b64 v[10:11], 3, v[24:25]
	v_add_co_u32_e32 v10, vcc, v28, v10
	v_addc_co_u32_e32 v11, vcc, v29, v11, vcc
	v_mov_b32_e32 v27, v16
	v_add_u32_e32 v16, 0x1ef, v32
	global_store_dwordx2 v[10:11], v[8:9], off
	v_mad_u64_u32 v[10:11], s[0:1], s2, v16, 0
	v_lshlrev_b64 v[8:9], 3, v[26:27]
	v_mad_u64_u32 v[16:17], s[0:1], s3, v16, v[11:12]
	v_add_u32_e32 v17, 0x294, v32
	v_mad_u64_u32 v[24:25], s[0:1], s2, v17, 0
	v_add_co_u32_e32 v8, vcc, v28, v8
	v_addc_co_u32_e32 v9, vcc, v29, v9, vcc
	global_store_dwordx2 v[8:9], v[6:7], off
	v_mov_b32_e32 v8, v25
	v_mov_b32_e32 v11, v16
	v_mad_u64_u32 v[8:9], s[0:1], s3, v17, v[8:9]
	v_lshlrev_b64 v[6:7], 3, v[10:11]
	v_add_u32_e32 v10, 0x3de, v32
	v_add_co_u32_e32 v6, vcc, v28, v6
	v_addc_co_u32_e32 v7, vcc, v29, v7, vcc
	v_mov_b32_e32 v25, v8
	v_add_u32_e32 v8, 0x339, v32
	global_store_dwordx2 v[6:7], v[4:5], off
	v_mad_u64_u32 v[6:7], s[0:1], s2, v8, 0
	v_lshlrev_b64 v[4:5], 3, v[24:25]
	v_mad_u64_u32 v[7:8], s[0:1], s3, v8, v[7:8]
	v_mad_u64_u32 v[8:9], s[0:1], s2, v10, 0
	v_add_co_u32_e32 v4, vcc, v28, v4
	v_addc_co_u32_e32 v5, vcc, v29, v5, vcc
	global_store_dwordx2 v[4:5], v[2:3], off
	v_mov_b32_e32 v4, v9
	v_mad_u64_u32 v[4:5], s[0:1], s3, v10, v[4:5]
	v_lshlrev_b64 v[2:3], 3, v[6:7]
	v_add_u32_e32 v6, 0x528, v32
	v_add_co_u32_e32 v2, vcc, v28, v2
	v_addc_co_u32_e32 v3, vcc, v29, v3, vcc
	v_mov_b32_e32 v9, v4
	v_add_u32_e32 v4, 0x483, v32
	global_store_dwordx2 v[2:3], v[0:1], off
	v_mad_u64_u32 v[2:3], s[0:1], s2, v4, 0
	v_lshlrev_b64 v[0:1], 3, v[8:9]
	v_mad_u64_u32 v[3:4], s[0:1], s3, v4, v[3:4]
	v_mad_u64_u32 v[4:5], s[0:1], s2, v6, 0
	v_add_co_u32_e32 v0, vcc, v28, v0
	v_addc_co_u32_e32 v1, vcc, v29, v1, vcc
	global_store_dwordx2 v[0:1], v[12:13], off
	v_lshlrev_b64 v[0:1], 3, v[2:3]
	v_mov_b32_e32 v2, v5
	v_mad_u64_u32 v[2:3], s[0:1], s3, v6, v[2:3]
	v_add_co_u32_e32 v0, vcc, v28, v0
	v_addc_co_u32_e32 v1, vcc, v29, v1, vcc
	v_mov_b32_e32 v5, v2
	global_store_dwordx2 v[0:1], v[14:15], off
	v_lshlrev_b64 v[0:1], 3, v[4:5]
	v_add_u32_e32 v4, 0x5cd, v32
	v_mad_u64_u32 v[2:3], s[0:1], s2, v4, 0
	v_add_u32_e32 v6, 0x672, v32
	v_add_co_u32_e32 v0, vcc, v28, v0
	v_mad_u64_u32 v[3:4], s[0:1], s3, v4, v[3:4]
	v_mad_u64_u32 v[4:5], s[0:1], s2, v6, 0
	v_addc_co_u32_e32 v1, vcc, v29, v1, vcc
	global_store_dwordx2 v[0:1], v[18:19], off
	v_lshlrev_b64 v[0:1], 3, v[2:3]
	v_mov_b32_e32 v2, v5
	v_mad_u64_u32 v[2:3], s[0:1], s3, v6, v[2:3]
	v_add_co_u32_e32 v0, vcc, v28, v0
	v_addc_co_u32_e32 v1, vcc, v29, v1, vcc
	v_mov_b32_e32 v5, v2
	global_store_dwordx2 v[0:1], v[20:21], off
	v_lshlrev_b64 v[0:1], 3, v[4:5]
	v_add_co_u32_e32 v0, vcc, v28, v0
	v_addc_co_u32_e32 v1, vcc, v29, v1, vcc
	global_store_dwordx2 v[0:1], v[22:23], off
.LBB0_23:
	s_endpgm
	.section	.rodata,"a",@progbits
	.p2align	6, 0x0
	.amdhsa_kernel fft_rtc_back_len1815_factors_11_3_5_11_wgs_165_tpt_165_sp_ip_CI_sbrr_dirReg
		.amdhsa_group_segment_fixed_size 0
		.amdhsa_private_segment_fixed_size 0
		.amdhsa_kernarg_size 88
		.amdhsa_user_sgpr_count 6
		.amdhsa_user_sgpr_private_segment_buffer 1
		.amdhsa_user_sgpr_dispatch_ptr 0
		.amdhsa_user_sgpr_queue_ptr 0
		.amdhsa_user_sgpr_kernarg_segment_ptr 1
		.amdhsa_user_sgpr_dispatch_id 0
		.amdhsa_user_sgpr_flat_scratch_init 0
		.amdhsa_user_sgpr_private_segment_size 0
		.amdhsa_uses_dynamic_stack 0
		.amdhsa_system_sgpr_private_segment_wavefront_offset 0
		.amdhsa_system_sgpr_workgroup_id_x 1
		.amdhsa_system_sgpr_workgroup_id_y 0
		.amdhsa_system_sgpr_workgroup_id_z 0
		.amdhsa_system_sgpr_workgroup_info 0
		.amdhsa_system_vgpr_workitem_id 0
		.amdhsa_next_free_vgpr 97
		.amdhsa_next_free_sgpr 24
		.amdhsa_reserve_vcc 1
		.amdhsa_reserve_flat_scratch 0
		.amdhsa_float_round_mode_32 0
		.amdhsa_float_round_mode_16_64 0
		.amdhsa_float_denorm_mode_32 3
		.amdhsa_float_denorm_mode_16_64 3
		.amdhsa_dx10_clamp 1
		.amdhsa_ieee_mode 1
		.amdhsa_fp16_overflow 0
		.amdhsa_exception_fp_ieee_invalid_op 0
		.amdhsa_exception_fp_denorm_src 0
		.amdhsa_exception_fp_ieee_div_zero 0
		.amdhsa_exception_fp_ieee_overflow 0
		.amdhsa_exception_fp_ieee_underflow 0
		.amdhsa_exception_fp_ieee_inexact 0
		.amdhsa_exception_int_div_zero 0
	.end_amdhsa_kernel
	.text
.Lfunc_end0:
	.size	fft_rtc_back_len1815_factors_11_3_5_11_wgs_165_tpt_165_sp_ip_CI_sbrr_dirReg, .Lfunc_end0-fft_rtc_back_len1815_factors_11_3_5_11_wgs_165_tpt_165_sp_ip_CI_sbrr_dirReg
                                        ; -- End function
	.section	.AMDGPU.csdata,"",@progbits
; Kernel info:
; codeLenInByte = 9636
; NumSgprs: 28
; NumVgprs: 97
; ScratchSize: 0
; MemoryBound: 0
; FloatMode: 240
; IeeeMode: 1
; LDSByteSize: 0 bytes/workgroup (compile time only)
; SGPRBlocks: 3
; VGPRBlocks: 24
; NumSGPRsForWavesPerEU: 28
; NumVGPRsForWavesPerEU: 97
; Occupancy: 2
; WaveLimiterHint : 1
; COMPUTE_PGM_RSRC2:SCRATCH_EN: 0
; COMPUTE_PGM_RSRC2:USER_SGPR: 6
; COMPUTE_PGM_RSRC2:TRAP_HANDLER: 0
; COMPUTE_PGM_RSRC2:TGID_X_EN: 1
; COMPUTE_PGM_RSRC2:TGID_Y_EN: 0
; COMPUTE_PGM_RSRC2:TGID_Z_EN: 0
; COMPUTE_PGM_RSRC2:TIDIG_COMP_CNT: 0
	.type	__hip_cuid_8599d08b60a125d8,@object ; @__hip_cuid_8599d08b60a125d8
	.section	.bss,"aw",@nobits
	.globl	__hip_cuid_8599d08b60a125d8
__hip_cuid_8599d08b60a125d8:
	.byte	0                               ; 0x0
	.size	__hip_cuid_8599d08b60a125d8, 1

	.ident	"AMD clang version 19.0.0git (https://github.com/RadeonOpenCompute/llvm-project roc-6.4.0 25133 c7fe45cf4b819c5991fe208aaa96edf142730f1d)"
	.section	".note.GNU-stack","",@progbits
	.addrsig
	.addrsig_sym __hip_cuid_8599d08b60a125d8
	.amdgpu_metadata
---
amdhsa.kernels:
  - .args:
      - .actual_access:  read_only
        .address_space:  global
        .offset:         0
        .size:           8
        .value_kind:     global_buffer
      - .offset:         8
        .size:           8
        .value_kind:     by_value
      - .actual_access:  read_only
        .address_space:  global
        .offset:         16
        .size:           8
        .value_kind:     global_buffer
      - .actual_access:  read_only
        .address_space:  global
        .offset:         24
        .size:           8
        .value_kind:     global_buffer
      - .offset:         32
        .size:           8
        .value_kind:     by_value
      - .actual_access:  read_only
        .address_space:  global
        .offset:         40
        .size:           8
        .value_kind:     global_buffer
      - .actual_access:  read_only
        .address_space:  global
        .offset:         48
        .size:           8
        .value_kind:     global_buffer
      - .offset:         56
        .size:           4
        .value_kind:     by_value
      - .actual_access:  read_only
        .address_space:  global
        .offset:         64
        .size:           8
        .value_kind:     global_buffer
      - .actual_access:  read_only
        .address_space:  global
        .offset:         72
        .size:           8
        .value_kind:     global_buffer
      - .address_space:  global
        .offset:         80
        .size:           8
        .value_kind:     global_buffer
    .group_segment_fixed_size: 0
    .kernarg_segment_align: 8
    .kernarg_segment_size: 88
    .language:       OpenCL C
    .language_version:
      - 2
      - 0
    .max_flat_workgroup_size: 165
    .name:           fft_rtc_back_len1815_factors_11_3_5_11_wgs_165_tpt_165_sp_ip_CI_sbrr_dirReg
    .private_segment_fixed_size: 0
    .sgpr_count:     28
    .sgpr_spill_count: 0
    .symbol:         fft_rtc_back_len1815_factors_11_3_5_11_wgs_165_tpt_165_sp_ip_CI_sbrr_dirReg.kd
    .uniform_work_group_size: 1
    .uses_dynamic_stack: false
    .vgpr_count:     97
    .vgpr_spill_count: 0
    .wavefront_size: 64
amdhsa.target:   amdgcn-amd-amdhsa--gfx906
amdhsa.version:
  - 1
  - 2
...

	.end_amdgpu_metadata
